;; amdgpu-corpus repo=triton-lang/triton kind=triton arch=gfx1100 opt=O3 lang=triton
	.amdgcn_target "amdgcn-amd-amdhsa--gfx1100"
	.amdhsa_code_object_version 5
	.text
	.globl	indirect_matmul_kernel          ; -- Begin function indirect_matmul_kernel
	.p2align	8
	.type	indirect_matmul_kernel,@function
indirect_matmul_kernel:                 ; @indirect_matmul_kernel
.Lfunc_begin0:
	.file	1 "/root/src/amdgpu-assembly/repos/triton-lang__triton-aot" "indirect_matmul.py"
	.loc	1 8 0                           ; indirect_matmul.py:8:0
	.cfi_sections .debug_frame
	.cfi_startproc
; %bb.0:
	s_clause 0x1
	s_load_b32 s12, s[0:1], 0x38
	s_load_b64 s[8:9], s[0:1], 0x30
.Ltmp0:
	.loc	1 23 40 prologue_end            ; indirect_matmul.py:23:40
	v_and_b32_e32 v67, 64, v0
	.loc	1 25 26                         ; indirect_matmul.py:25:26
	v_and_b32_e32 v2, 63, v0
	s_mov_b32 s7, 0x31027000
	s_mov_b32 s6, 0x7ffffffe
	s_clause 0x1
	s_load_b64 s[10:11], s[0:1], 0x10
	s_load_b32 s13, s[0:1], 0x18
	.loc	1 28 17                         ; indirect_matmul.py:28:17
	v_dual_mov_b32 v2, 0 :: v_dual_lshlrev_b32 v19, 1, v2
	.loc	1 33 22                         ; indirect_matmul.py:33:22
	v_lshrrev_b32_e32 v1, 4, v67
	.loc	1 32 25                         ; indirect_matmul.py:32:25
	s_waitcnt lgkmcnt(0)
	s_cmp_gt_i32 s12, 0
	.loc	1 33 22                         ; indirect_matmul.py:33:22
	s_mov_b32 s4, s8
	.loc	1 32 25                         ; indirect_matmul.py:32:25
	s_cselect_b32 s3, -1, 0
	.loc	1 33 22                         ; indirect_matmul.py:33:22
	s_and_b32 s5, s9, 0xffff
	v_cndmask_b32_e64 v1, 0x80000000, v1, s3
	.loc	1 32 25                         ; indirect_matmul.py:32:25
	s_cmp_lt_i32 s12, 1
	.loc	1 28 17                         ; indirect_matmul.py:28:17
	v_add_co_u32 v69, s2, s10, v19
	s_delay_alu instid0(VALU_DEP_1) | instskip(SKIP_2) | instid1(VALU_DEP_1)
	v_add_co_ci_u32_e64 v70, null, s11, 0, s2
	.loc	1 33 22                         ; indirect_matmul.py:33:22
	buffer_load_b32 v16, v1, s[4:7], 0 offen
	.loc	1 23 40                         ; indirect_matmul.py:23:40
	v_lshrrev_b32_e32 v1, 6, v0
	v_lshlrev_b32_e32 v1, 2, v1
	s_delay_alu instid0(VALU_DEP_1) | instskip(SKIP_1) | instid1(VALU_DEP_2)
	.loc	1 33 22                         ; indirect_matmul.py:33:22
	v_or_b32_e32 v3, 8, v1
	v_or_b32_e32 v4, 16, v1
	v_cndmask_b32_e64 v5, 0x80000000, v3, s3
	v_mov_b32_e32 v3, 0
	.loc	1 35 20                         ; indirect_matmul.py:35:20
	s_cbranch_scc1 .LBB0_2
; %bb.1:
	.loc	1 0 20 is_stmt 0                ; indirect_matmul.py:0:20
	s_waitcnt vmcnt(0)
	v_mul_lo_u32 v6, v16, s13
	s_delay_alu instid0(VALU_DEP_1) | instskip(NEXT) | instid1(VALU_DEP_1)
	v_ashrrev_i32_e32 v7, 31, v6
	v_lshlrev_b64 v[6:7], 1, v[6:7]
	s_delay_alu instid0(VALU_DEP_1) | instskip(NEXT) | instid1(VALU_DEP_1)
	v_add_co_u32 v6, vcc_lo, v69, v6
	v_add_co_ci_u32_e64 v7, null, v70, v7, vcc_lo
	.loc	1 35 20                         ; indirect_matmul.py:35:20
	global_load_u16 v3, v[6:7], off
.LBB0_2:
	.loc	1 0 0                           ; indirect_matmul.py:0
	buffer_load_b32 v18, v5, s[4:7], 0 offen
	.loc	1 35 20                         ; indirect_matmul.py:35:20
	v_cndmask_b32_e64 v5, 0, 1, s3
	.loc	1 0 0                           ; indirect_matmul.py:0
	v_cndmask_b32_e64 v4, 0x80000000, v4, s3
	.loc	1 35 20                         ; indirect_matmul.py:35:20
	s_and_not1_b32 vcc_lo, exec_lo, s3
	s_delay_alu instid0(VALU_DEP_2)
	v_cmp_ne_u32_e64 s2, 1, v5
	.loc	1 0 0                           ; indirect_matmul.py:0
	v_or_b32_e32 v5, 24, v1
	.loc	1 35 20                         ; indirect_matmul.py:35:20
	s_cbranch_vccnz .LBB0_4
; %bb.3:
	.loc	1 35 44                         ; indirect_matmul.py:35:44
	s_waitcnt vmcnt(0)
	v_mul_lo_u32 v6, v18, s13
	s_delay_alu instid0(VALU_DEP_1) | instskip(NEXT) | instid1(VALU_DEP_1)
	.loc	1 35 29                         ; indirect_matmul.py:35:29
	v_ashrrev_i32_e32 v7, 31, v6
	v_lshlrev_b64 v[6:7], 1, v[6:7]
	s_delay_alu instid0(VALU_DEP_1) | instskip(NEXT) | instid1(VALU_DEP_1)
	v_add_co_u32 v6, vcc_lo, v69, v6
	v_add_co_ci_u32_e64 v7, null, v70, v7, vcc_lo
	.loc	1 35 20                         ; indirect_matmul.py:35:20
	global_load_u16 v2, v[6:7], off
.LBB0_4:
	.loc	1 0 20                          ; indirect_matmul.py:0:20
	buffer_load_b32 v21, v4, s[4:7], 0 offen
	v_or_b32_e32 v6, 32, v1
	v_cndmask_b32_e64 v7, 0x80000000, v5, s3
	v_dual_mov_b32 v4, 0 :: v_dual_mov_b32 v5, 0
	.loc	1 35 20                         ; indirect_matmul.py:35:20
	s_and_b32 vcc_lo, exec_lo, s2
	s_cbranch_vccnz .LBB0_6
; %bb.5:
	.loc	1 35 44                         ; indirect_matmul.py:35:44
	s_waitcnt vmcnt(0)
	v_mul_lo_u32 v8, v21, s13
	s_delay_alu instid0(VALU_DEP_1) | instskip(NEXT) | instid1(VALU_DEP_1)
	.loc	1 35 29                         ; indirect_matmul.py:35:29
	v_ashrrev_i32_e32 v9, 31, v8
	v_lshlrev_b64 v[8:9], 1, v[8:9]
	s_delay_alu instid0(VALU_DEP_1) | instskip(NEXT) | instid1(VALU_DEP_1)
	v_add_co_u32 v8, vcc_lo, v69, v8
	v_add_co_ci_u32_e64 v9, null, v70, v9, vcc_lo
	.loc	1 35 20                         ; indirect_matmul.py:35:20
	global_load_u16 v5, v[8:9], off
.LBB0_6:
	.loc	1 0 20                          ; indirect_matmul.py:0:20
	buffer_load_b32 v22, v7, s[4:7], 0 offen
	v_or_b32_e32 v7, 40, v1
	v_cndmask_b32_e64 v6, 0x80000000, v6, s3
	.loc	1 35 20                         ; indirect_matmul.py:35:20
	s_and_b32 vcc_lo, exec_lo, s2
	s_cbranch_vccnz .LBB0_8
; %bb.7:
	.loc	1 35 44                         ; indirect_matmul.py:35:44
	s_waitcnt vmcnt(0)
	v_mul_lo_u32 v8, v22, s13
	s_delay_alu instid0(VALU_DEP_1) | instskip(NEXT) | instid1(VALU_DEP_1)
	.loc	1 35 29                         ; indirect_matmul.py:35:29
	v_ashrrev_i32_e32 v9, 31, v8
	v_lshlrev_b64 v[8:9], 1, v[8:9]
	s_delay_alu instid0(VALU_DEP_1) | instskip(NEXT) | instid1(VALU_DEP_1)
	v_add_co_u32 v8, vcc_lo, v69, v8
	v_add_co_ci_u32_e64 v9, null, v70, v9, vcc_lo
	.loc	1 35 20                         ; indirect_matmul.py:35:20
	global_load_u16 v4, v[8:9], off
.LBB0_8:
	.loc	1 0 20                          ; indirect_matmul.py:0:20
	buffer_load_b32 v23, v6, s[4:7], 0 offen
	v_or_b32_e32 v8, 48, v1
	v_cndmask_b32_e64 v9, 0x80000000, v7, s3
	v_dual_mov_b32 v6, 0 :: v_dual_mov_b32 v7, 0
	.loc	1 35 20                         ; indirect_matmul.py:35:20
	s_and_b32 vcc_lo, exec_lo, s2
	s_cbranch_vccnz .LBB0_10
; %bb.9:
	.loc	1 35 44                         ; indirect_matmul.py:35:44
	s_waitcnt vmcnt(0)
	v_mul_lo_u32 v10, v23, s13
	s_delay_alu instid0(VALU_DEP_1) | instskip(NEXT) | instid1(VALU_DEP_1)
	.loc	1 35 29                         ; indirect_matmul.py:35:29
	v_ashrrev_i32_e32 v11, 31, v10
	v_lshlrev_b64 v[10:11], 1, v[10:11]
	s_delay_alu instid0(VALU_DEP_1) | instskip(NEXT) | instid1(VALU_DEP_1)
	v_add_co_u32 v10, vcc_lo, v69, v10
	v_add_co_ci_u32_e64 v11, null, v70, v11, vcc_lo
	.loc	1 35 20                         ; indirect_matmul.py:35:20
	global_load_u16 v7, v[10:11], off
.LBB0_10:
	.loc	1 0 20                          ; indirect_matmul.py:0:20
	buffer_load_b32 v24, v9, s[4:7], 0 offen
	v_or_b32_e32 v9, 56, v1
	v_cndmask_b32_e64 v8, 0x80000000, v8, s3
	.loc	1 35 20                         ; indirect_matmul.py:35:20
	s_and_b32 vcc_lo, exec_lo, s2
	;; [unrolled: 43-line block ×6, first 2 shown]
	s_cbranch_vccnz .LBB0_28
; %bb.27:
	.loc	1 35 44                         ; indirect_matmul.py:35:44
	s_waitcnt vmcnt(0)
	v_mul_lo_u32 v33, v32, s13
	s_delay_alu instid0(VALU_DEP_1) | instskip(NEXT) | instid1(VALU_DEP_1)
	.loc	1 35 29                         ; indirect_matmul.py:35:29
	v_ashrrev_i32_e32 v34, 31, v33
	v_lshlrev_b64 v[33:34], 1, v[33:34]
	s_delay_alu instid0(VALU_DEP_1) | instskip(NEXT) | instid1(VALU_DEP_1)
	v_add_co_u32 v33, vcc_lo, v69, v33
	v_add_co_ci_u32_e64 v34, null, v70, v34, vcc_lo
	.loc	1 35 20                         ; indirect_matmul.py:35:20
	global_load_u16 v14, v[33:34], off
.LBB0_28:
	.loc	1 0 20                          ; indirect_matmul.py:0:20
	buffer_load_b32 v33, v17, s[4:7], 0 offen
	s_load_b64 s[10:11], s[0:1], 0x20
	v_cndmask_b32_e64 v34, 0x80000000, v20, s3
	v_dual_mov_b32 v17, 0 :: v_dual_mov_b32 v20, 0
	.loc	1 35 20                         ; indirect_matmul.py:35:20
	s_and_b32 vcc_lo, exec_lo, s2
	s_cbranch_vccnz .LBB0_30
; %bb.29:
	.loc	1 35 44                         ; indirect_matmul.py:35:44
	s_waitcnt vmcnt(0)
	v_mul_lo_u32 v35, v33, s13
	s_delay_alu instid0(VALU_DEP_1) | instskip(NEXT) | instid1(VALU_DEP_1)
	.loc	1 35 29                         ; indirect_matmul.py:35:29
	v_ashrrev_i32_e32 v36, 31, v35
	v_lshlrev_b64 v[35:36], 1, v[35:36]
	s_delay_alu instid0(VALU_DEP_1) | instskip(NEXT) | instid1(VALU_DEP_1)
	v_add_co_u32 v35, vcc_lo, v69, v35
	v_add_co_ci_u32_e64 v36, null, v70, v36, vcc_lo
	.loc	1 35 20                         ; indirect_matmul.py:35:20
	global_load_u16 v20, v[35:36], off
.LBB0_30:
	.loc	1 0 20                          ; indirect_matmul.py:0:20
	buffer_load_b32 v34, v34, s[4:7], 0 offen
	.loc	1 35 20                         ; indirect_matmul.py:35:20
	s_and_b32 vcc_lo, exec_lo, s2
	s_cbranch_vccnz .LBB0_32
; %bb.31:
	.loc	1 35 44                         ; indirect_matmul.py:35:44
	s_waitcnt vmcnt(0)
	v_mul_lo_u32 v35, v34, s13
	s_delay_alu instid0(VALU_DEP_1) | instskip(NEXT) | instid1(VALU_DEP_1)
	.loc	1 35 29                         ; indirect_matmul.py:35:29
	v_ashrrev_i32_e32 v36, 31, v35
	v_lshlrev_b64 v[35:36], 1, v[35:36]
	s_delay_alu instid0(VALU_DEP_1) | instskip(NEXT) | instid1(VALU_DEP_1)
	v_add_co_u32 v35, vcc_lo, v69, v35
	v_add_co_ci_u32_e64 v36, null, v70, v36, vcc_lo
	.loc	1 35 20                         ; indirect_matmul.py:35:20
	global_load_u16 v17, v[35:36], off
.LBB0_32:
	.loc	1 0 20                          ; indirect_matmul.py:0:20
	s_load_b32 s4, s[0:1], 0x28
	.loc	1 29 17 is_stmt 1               ; indirect_matmul.py:29:17
	s_waitcnt lgkmcnt(0)
	v_add_co_u32 v81, s3, s10, v19
	v_dual_mov_b32 v71, 0 :: v_dual_mov_b32 v72, 0
	v_add_co_ci_u32_e64 v82, null, s11, 0, s3
	.loc	1 36 20                         ; indirect_matmul.py:36:20
	s_and_b32 vcc_lo, exec_lo, s2
	s_cbranch_vccnz .LBB0_34
; %bb.33:
	.loc	1 0 20 is_stmt 0                ; indirect_matmul.py:0:20
	s_waitcnt vmcnt(15)
	v_mul_lo_u32 v35, v16, s4
	s_delay_alu instid0(VALU_DEP_1) | instskip(NEXT) | instid1(VALU_DEP_1)
	v_ashrrev_i32_e32 v36, 31, v35
	v_lshlrev_b64 v[35:36], 1, v[35:36]
	s_delay_alu instid0(VALU_DEP_1) | instskip(NEXT) | instid1(VALU_DEP_1)
	v_add_co_u32 v35, vcc_lo, v81, v35
	v_add_co_ci_u32_e64 v36, null, v82, v36, vcc_lo
	.loc	1 36 20                         ; indirect_matmul.py:36:20
	global_load_u16 v72, v[35:36], off
.LBB0_34:
	s_and_b32 vcc_lo, exec_lo, s2
	s_cbranch_vccnz .LBB0_36
; %bb.35:
	.loc	1 36 44                         ; indirect_matmul.py:36:44
	s_waitcnt vmcnt(14)
	v_mul_lo_u32 v18, v18, s4
	s_delay_alu instid0(VALU_DEP_1) | instskip(NEXT) | instid1(VALU_DEP_1)
	.loc	1 36 29                         ; indirect_matmul.py:36:29
	v_ashrrev_i32_e32 v19, 31, v18
	v_lshlrev_b64 v[18:19], 1, v[18:19]
	s_delay_alu instid0(VALU_DEP_1) | instskip(NEXT) | instid1(VALU_DEP_1)
	v_add_co_u32 v18, vcc_lo, v81, v18
	v_add_co_ci_u32_e64 v19, null, v82, v19, vcc_lo
	.loc	1 36 20                         ; indirect_matmul.py:36:20
	global_load_u16 v71, v[18:19], off
.LBB0_36:
	.loc	1 0 20                          ; indirect_matmul.py:0:20
	v_dual_mov_b32 v73, 0 :: v_dual_mov_b32 v74, 0
	.loc	1 36 20                         ; indirect_matmul.py:36:20
	s_and_b32 vcc_lo, exec_lo, s2
	s_cbranch_vccnz .LBB0_38
; %bb.37:
	.loc	1 36 44                         ; indirect_matmul.py:36:44
	s_waitcnt vmcnt(13)
	v_mul_lo_u32 v18, v21, s4
	s_delay_alu instid0(VALU_DEP_1) | instskip(NEXT) | instid1(VALU_DEP_1)
	.loc	1 36 29                         ; indirect_matmul.py:36:29
	v_ashrrev_i32_e32 v19, 31, v18
	v_lshlrev_b64 v[18:19], 1, v[18:19]
	s_delay_alu instid0(VALU_DEP_1) | instskip(NEXT) | instid1(VALU_DEP_1)
	v_add_co_u32 v18, vcc_lo, v81, v18
	v_add_co_ci_u32_e64 v19, null, v82, v19, vcc_lo
	.loc	1 36 20                         ; indirect_matmul.py:36:20
	global_load_u16 v74, v[18:19], off
.LBB0_38:
	s_and_b32 vcc_lo, exec_lo, s2
	s_cbranch_vccnz .LBB0_40
; %bb.39:
	.loc	1 36 44                         ; indirect_matmul.py:36:44
	s_waitcnt vmcnt(12)
	v_mul_lo_u32 v18, v22, s4
	s_delay_alu instid0(VALU_DEP_1) | instskip(NEXT) | instid1(VALU_DEP_1)
	.loc	1 36 29                         ; indirect_matmul.py:36:29
	v_ashrrev_i32_e32 v19, 31, v18
	v_lshlrev_b64 v[18:19], 1, v[18:19]
	s_delay_alu instid0(VALU_DEP_1) | instskip(NEXT) | instid1(VALU_DEP_1)
	v_add_co_u32 v18, vcc_lo, v81, v18
	v_add_co_ci_u32_e64 v19, null, v82, v19, vcc_lo
	.loc	1 36 20                         ; indirect_matmul.py:36:20
	global_load_u16 v73, v[18:19], off
.LBB0_40:
	.loc	1 0 20                          ; indirect_matmul.py:0:20
	v_dual_mov_b32 v75, 0 :: v_dual_mov_b32 v76, 0
	.loc	1 36 20                         ; indirect_matmul.py:36:20
	s_and_b32 vcc_lo, exec_lo, s2
	s_cbranch_vccnz .LBB0_42
; %bb.41:
	.loc	1 36 44                         ; indirect_matmul.py:36:44
	s_waitcnt vmcnt(11)
	v_mul_lo_u32 v18, v23, s4
	s_delay_alu instid0(VALU_DEP_1) | instskip(NEXT) | instid1(VALU_DEP_1)
	.loc	1 36 29                         ; indirect_matmul.py:36:29
	v_ashrrev_i32_e32 v19, 31, v18
	v_lshlrev_b64 v[18:19], 1, v[18:19]
	s_delay_alu instid0(VALU_DEP_1) | instskip(NEXT) | instid1(VALU_DEP_1)
	v_add_co_u32 v18, vcc_lo, v81, v18
	v_add_co_ci_u32_e64 v19, null, v82, v19, vcc_lo
	.loc	1 36 20                         ; indirect_matmul.py:36:20
	global_load_u16 v76, v[18:19], off
.LBB0_42:
	;; [unrolled: 35-line block ×5, first 2 shown]
	s_and_b32 vcc_lo, exec_lo, s2
	s_cbranch_vccnz .LBB0_56
; %bb.55:
	.loc	1 36 44                         ; indirect_matmul.py:36:44
	s_waitcnt vmcnt(4)
	v_mul_lo_u32 v18, v30, s4
	s_delay_alu instid0(VALU_DEP_1) | instskip(NEXT) | instid1(VALU_DEP_1)
	.loc	1 36 29                         ; indirect_matmul.py:36:29
	v_ashrrev_i32_e32 v19, 31, v18
	v_lshlrev_b64 v[18:19], 1, v[18:19]
	s_delay_alu instid0(VALU_DEP_1) | instskip(NEXT) | instid1(VALU_DEP_1)
	v_add_co_u32 v18, vcc_lo, v81, v18
	v_add_co_ci_u32_e64 v19, null, v82, v19, vcc_lo
	.loc	1 36 20                         ; indirect_matmul.py:36:20
	global_load_u16 v83, v[18:19], off
.LBB0_56:
	.loc	1 0 20                          ; indirect_matmul.py:0:20
	v_mov_b32_e32 v88, 0
	v_mov_b32_e32 v90, 0
	.loc	1 36 20                         ; indirect_matmul.py:36:20
	s_and_b32 vcc_lo, exec_lo, s2
	s_cbranch_vccnz .LBB0_58
; %bb.57:
	.loc	1 36 44                         ; indirect_matmul.py:36:44
	s_waitcnt vmcnt(3)
	v_mul_lo_u32 v18, v31, s4
	s_delay_alu instid0(VALU_DEP_1) | instskip(NEXT) | instid1(VALU_DEP_1)
	.loc	1 36 29                         ; indirect_matmul.py:36:29
	v_ashrrev_i32_e32 v19, 31, v18
	v_lshlrev_b64 v[18:19], 1, v[18:19]
	s_delay_alu instid0(VALU_DEP_1) | instskip(NEXT) | instid1(VALU_DEP_1)
	v_add_co_u32 v18, vcc_lo, v81, v18
	v_add_co_ci_u32_e64 v19, null, v82, v19, vcc_lo
	.loc	1 36 20                         ; indirect_matmul.py:36:20
	global_load_u16 v90, v[18:19], off
.LBB0_58:
	s_and_b32 vcc_lo, exec_lo, s2
	s_cbranch_vccnz .LBB0_60
; %bb.59:
	.loc	1 36 44                         ; indirect_matmul.py:36:44
	s_waitcnt vmcnt(2)
	v_mul_lo_u32 v18, v32, s4
	s_delay_alu instid0(VALU_DEP_1) | instskip(NEXT) | instid1(VALU_DEP_1)
	.loc	1 36 29                         ; indirect_matmul.py:36:29
	v_ashrrev_i32_e32 v19, 31, v18
	v_lshlrev_b64 v[18:19], 1, v[18:19]
	s_delay_alu instid0(VALU_DEP_1) | instskip(NEXT) | instid1(VALU_DEP_1)
	v_add_co_u32 v18, vcc_lo, v81, v18
	v_add_co_ci_u32_e64 v19, null, v82, v19, vcc_lo
	.loc	1 36 20                         ; indirect_matmul.py:36:20
	global_load_u16 v88, v[18:19], off
.LBB0_60:
	.loc	1 0 20                          ; indirect_matmul.py:0:20
	v_dual_mov_b32 v91, 0 :: v_dual_mov_b32 v92, 0
	.loc	1 36 20                         ; indirect_matmul.py:36:20
	s_and_b32 vcc_lo, exec_lo, s2
	s_cbranch_vccnz .LBB0_62
; %bb.61:
	.loc	1 36 44                         ; indirect_matmul.py:36:44
	s_waitcnt vmcnt(1)
	v_mul_lo_u32 v18, v33, s4
	s_delay_alu instid0(VALU_DEP_1) | instskip(NEXT) | instid1(VALU_DEP_1)
	.loc	1 36 29                         ; indirect_matmul.py:36:29
	v_ashrrev_i32_e32 v19, 31, v18
	v_lshlrev_b64 v[18:19], 1, v[18:19]
	s_delay_alu instid0(VALU_DEP_1) | instskip(NEXT) | instid1(VALU_DEP_1)
	v_add_co_u32 v18, vcc_lo, v81, v18
	v_add_co_ci_u32_e64 v19, null, v82, v19, vcc_lo
	.loc	1 36 20                         ; indirect_matmul.py:36:20
	global_load_u16 v92, v[18:19], off
.LBB0_62:
	s_and_b32 vcc_lo, exec_lo, s2
	s_cbranch_vccnz .LBB0_64
; %bb.63:
	.loc	1 36 44                         ; indirect_matmul.py:36:44
	s_waitcnt vmcnt(0)
	v_mul_lo_u32 v18, v34, s4
	s_delay_alu instid0(VALU_DEP_1) | instskip(NEXT) | instid1(VALU_DEP_1)
	.loc	1 36 29                         ; indirect_matmul.py:36:29
	v_ashrrev_i32_e32 v19, 31, v18
	v_lshlrev_b64 v[18:19], 1, v[18:19]
	s_delay_alu instid0(VALU_DEP_1) | instskip(NEXT) | instid1(VALU_DEP_1)
	v_add_co_u32 v18, vcc_lo, v81, v18
	v_add_co_ci_u32_e64 v19, null, v82, v19, vcc_lo
	.loc	1 36 20                         ; indirect_matmul.py:36:20
	global_load_u16 v91, v[18:19], off
.LBB0_64:
	.loc	1 0 20                          ; indirect_matmul.py:0:20
	s_load_b64 s[2:3], s[0:1], 0x0
	.loc	1 35 20 is_stmt 1               ; indirect_matmul.py:35:20
	s_waitcnt vmcnt(15)
	v_lshlrev_b32_e32 v16, 1, v0
	.loc	1 26 35                         ; indirect_matmul.py:26:35
	v_and_b32_e32 v68, 32, v0
	v_lshrrev_b32_e32 v87, 1, v67
	.loc	1 32 25                         ; indirect_matmul.py:32:25
	s_sub_i32 s6, s12, 32
	.loc	1 35 20                         ; indirect_matmul.py:35:20
	s_mov_b32 s5, 0
	s_waitcnt vmcnt(14)
	v_or_b32_e32 v18, 0x700, v16
	v_or_b32_e32 v19, 0xf00, v16
	v_add_nc_u32_e32 v85, 0, v16
	.loc	1 32 25                         ; indirect_matmul.py:32:25
	s_cmp_lt_i32 s6, 1
	.loc	1 35 20                         ; indirect_matmul.py:35:20
	ds_store_b16 v85, v3
	ds_store_b16 v85, v2 offset:256
	s_waitcnt vmcnt(13)
	ds_store_b16 v85, v5 offset:512
	s_waitcnt vmcnt(12)
	;; [unrolled: 2-line block ×6, first 2 shown]
	ds_store_b16 v85, v11 offset:2048
	v_add_nc_u32_e32 v86, 0, v18
	v_add_nc_u32_e32 v89, 0, v19
	s_waitcnt vmcnt(6)
	ds_store_b16 v85, v10 offset:2304
	s_waitcnt vmcnt(5)
	ds_store_b16 v85, v13 offset:2560
	;; [unrolled: 2-line block ×5, first 2 shown]
	ds_store_b16 v86, v8
	s_waitcnt vmcnt(1)
	ds_store_b16 v85, v20 offset:3584
	s_waitcnt vmcnt(0)
	ds_store_b16 v89, v17
	.loc	1 32 25                         ; indirect_matmul.py:32:25
	s_cbranch_scc1 .LBB0_67
; %bb.65:                               ; %.lr.ph
	v_dual_mov_b32 v9, 0 :: v_dual_and_b32 v2, 30, v16
	v_add_co_u32 v1, s7, s8, v1
	s_delay_alu instid0(VALU_DEP_2) | instskip(SKIP_2) | instid1(VALU_DEP_4)
	v_add3_u32 v93, 0, v68, v2
	v_add3_u32 v94, 0, v87, v2
	v_add_co_ci_u32_e64 v2, null, s9, 0, s7
	v_add_co_u32 v65, vcc_lo, 0xf8, v1
	v_mov_b32_e32 v10, v9
	s_delay_alu instid0(VALU_DEP_3)
	v_add_co_ci_u32_e64 v66, null, 0, v2, vcc_lo
	v_mov_b32_e32 v11, v9
	v_mov_b32_e32 v12, v9
	;; [unrolled: 1-line block ×30, first 2 shown]
.LBB0_66:                               ; =>This Inner Loop Header: Depth=1
	.loc	1 33 22                         ; indirect_matmul.py:33:22
	s_clause 0xf
	global_load_b32 v33, v[65:66], off offset:-120
	global_load_b32 v34, v[65:66], off offset:-112
	;; [unrolled: 1-line block ×15, first 2 shown]
	global_load_b32 v64, v[65:66], off
	v_dual_mov_b32 v126, v80 :: v_dual_mov_b32 v125, v79
	.loc	1 32 25                         ; indirect_matmul.py:32:25
	s_add_i32 s5, s5, 32
	s_delay_alu instid0(SALU_CYCLE_1)
	s_cmp_lt_i32 s5, s6
	.loc	1 35 44                         ; indirect_matmul.py:35:44
	s_waitcnt vmcnt(15)
	v_mul_lo_u32 v48, v33, s13
	s_waitcnt vmcnt(14)
	v_mul_lo_u32 v50, v34, s13
	;; [unrolled: 2-line block ×8, first 2 shown]
	.loc	1 35 29 is_stmt 0               ; indirect_matmul.py:35:29
	v_ashrrev_i32_e32 v49, 31, v48
	v_ashrrev_i32_e32 v51, 31, v50
	;; [unrolled: 1-line block ×4, first 2 shown]
	.loc	1 35 44                         ; indirect_matmul.py:35:44
	s_waitcnt vmcnt(7)
	v_mul_lo_u32 v95, v41, s13
	.loc	1 35 29                         ; indirect_matmul.py:35:29
	v_lshlrev_b64 v[48:49], 1, v[48:49]
	v_lshlrev_b64 v[50:51], 1, v[50:51]
	v_ashrrev_i32_e32 v57, 31, v56
	v_lshlrev_b64 v[52:53], 1, v[52:53]
	.loc	1 35 44                         ; indirect_matmul.py:35:44
	s_waitcnt vmcnt(6)
	v_mul_lo_u32 v97, v42, s13
	.loc	1 35 29                         ; indirect_matmul.py:35:29
	v_ashrrev_i32_e32 v59, 31, v58
	v_lshlrev_b64 v[54:55], 1, v[54:55]
	v_add_co_u32 v48, vcc_lo, v69, v48
	.loc	1 35 44                         ; indirect_matmul.py:35:44
	s_waitcnt vmcnt(5)
	v_mul_lo_u32 v99, v43, s13
	.loc	1 35 29                         ; indirect_matmul.py:35:29
	v_ashrrev_i32_e32 v61, 31, v60
	v_lshlrev_b64 v[56:57], 1, v[56:57]
	v_add_co_ci_u32_e64 v49, null, v70, v49, vcc_lo
	v_add_co_u32 v50, vcc_lo, v69, v50
	.loc	1 35 44                         ; indirect_matmul.py:35:44
	s_waitcnt vmcnt(4)
	v_mul_lo_u32 v101, v44, s13
	.loc	1 35 29                         ; indirect_matmul.py:35:29
	v_ashrrev_i32_e32 v63, 31, v62
	v_lshlrev_b64 v[58:59], 1, v[58:59]
	v_add_co_ci_u32_e64 v51, null, v70, v51, vcc_lo
	;; [unrolled: 8-line block ×6, first 2 shown]
	v_add_co_u32 v60, vcc_lo, v69, v60
	v_ashrrev_i32_e32 v104, 31, v103
	v_lshlrev_b64 v[99:100], 1, v[99:100]
	v_add_co_ci_u32_e64 v61, null, v70, v61, vcc_lo
	v_add_co_u32 v62, vcc_lo, v69, v62
	v_ashrrev_i32_e32 v106, 31, v105
	v_lshlrev_b64 v[101:102], 1, v[101:102]
	v_add_co_ci_u32_e64 v63, null, v70, v63, vcc_lo
	;; [unrolled: 4-line block ×4, first 2 shown]
	v_add_co_u32 v113, vcc_lo, v69, v99
	v_lshlrev_b64 v[107:108], 1, v[107:108]
	v_add_co_ci_u32_e64 v114, null, v70, v100, vcc_lo
	v_add_co_u32 v115, vcc_lo, v69, v101
	v_lshlrev_b64 v[109:110], 1, v[109:110]
	v_add_co_ci_u32_e64 v116, null, v70, v102, vcc_lo
	v_add_co_u32 v117, vcc_lo, v69, v103
	s_delay_alu instid0(VALU_DEP_1) | instskip(SKIP_1) | instid1(VALU_DEP_1)
	v_add_co_ci_u32_e64 v118, null, v70, v104, vcc_lo
	v_add_co_u32 v119, vcc_lo, v69, v105
	v_add_co_ci_u32_e64 v120, null, v70, v106, vcc_lo
	v_add_co_u32 v121, vcc_lo, v69, v107
	s_delay_alu instid0(VALU_DEP_1) | instskip(SKIP_1) | instid1(VALU_DEP_1)
	v_add_co_ci_u32_e64 v122, null, v70, v108, vcc_lo
	v_add_co_u32 v123, vcc_lo, v69, v109
	v_add_co_ci_u32_e64 v124, null, v70, v110, vcc_lo
	.loc	1 35 20                         ; indirect_matmul.py:35:20
	s_clause 0xf
	global_load_u16 v98, v[48:49], off
	global_load_u16 v99, v[50:51], off
	;; [unrolled: 1-line block ×16, first 2 shown]
	.loc	1 36 44 is_stmt 1               ; indirect_matmul.py:36:44
	v_mul_lo_u32 v33, v33, s4
	v_mul_lo_u32 v48, v34, s4
	;; [unrolled: 1-line block ×8, first 2 shown]
	.loc	1 36 29 is_stmt 0               ; indirect_matmul.py:36:29
	v_ashrrev_i32_e32 v34, 31, v33
	v_ashrrev_i32_e32 v49, 31, v48
	;; [unrolled: 1-line block ×4, first 2 shown]
	.loc	1 36 44                         ; indirect_matmul.py:36:44
	v_mul_lo_u32 v62, v47, s4
	.loc	1 36 29                         ; indirect_matmul.py:36:29
	v_lshlrev_b64 v[33:34], 1, v[33:34]
	v_lshlrev_b64 v[47:48], 1, v[48:49]
	.loc	1 36 44                         ; indirect_matmul.py:36:44
	v_mul_lo_u32 v41, v41, s4
	.loc	1 36 29                         ; indirect_matmul.py:36:29
	v_ashrrev_i32_e32 v38, 31, v37
	v_lshlrev_b64 v[35:36], 1, v[35:36]
	.loc	1 36 44                         ; indirect_matmul.py:36:44
	v_mul_lo_u32 v56, v42, s4
	.loc	1 36 29                         ; indirect_matmul.py:36:29
	v_ashrrev_i32_e32 v53, 31, v52
	v_lshlrev_b64 v[49:50], 1, v[50:51]
	v_add_co_u32 v33, vcc_lo, v81, v33
	.loc	1 36 44                         ; indirect_matmul.py:36:44
	v_mul_lo_u32 v43, v43, s4
	.loc	1 36 29                         ; indirect_matmul.py:36:29
	v_ashrrev_i32_e32 v40, 31, v39
	v_lshlrev_b64 v[37:38], 1, v[37:38]
	v_add_co_ci_u32_e64 v34, null, v82, v34, vcc_lo
	v_add_co_u32 v47, vcc_lo, v81, v47
	.loc	1 36 44                         ; indirect_matmul.py:36:44
	v_mul_lo_u32 v58, v44, s4
	.loc	1 36 29                         ; indirect_matmul.py:36:29
	v_ashrrev_i32_e32 v55, 31, v54
	v_lshlrev_b64 v[51:52], 1, v[52:53]
	v_add_co_ci_u32_e64 v48, null, v82, v48, vcc_lo
	;; [unrolled: 7-line block ×4, first 2 shown]
	v_add_co_u32 v37, vcc_lo, v81, v37
	v_ashrrev_i32_e32 v44, 31, v43
	v_lshlrev_b64 v[41:42], 1, v[41:42]
	v_add_co_ci_u32_e64 v38, null, v82, v38, vcc_lo
	v_add_co_u32 v51, vcc_lo, v81, v51
	v_dual_mov_b32 v120, v72 :: v_dual_mov_b32 v119, v71
	.loc	1 36 44                         ; indirect_matmul.py:36:44
	v_mul_lo_u32 v71, v64, s4
	.loc	1 36 29                         ; indirect_matmul.py:36:29
	v_ashrrev_i32_e32 v59, 31, v58
	v_lshlrev_b64 v[55:56], 1, v[56:57]
	v_add_co_ci_u32_e64 v52, null, v82, v52, vcc_lo
	v_add_co_u32 v39, vcc_lo, v81, v39
	v_ashrrev_i32_e32 v46, 31, v45
	v_lshlrev_b64 v[43:44], 1, v[43:44]
	v_add_co_ci_u32_e64 v40, null, v82, v40, vcc_lo
	v_add_co_u32 v53, vcc_lo, v81, v53
	;; [unrolled: 4-line block ×5, first 2 shown]
	v_lshlrev_b64 v[61:62], 1, v[62:63]
	v_add_co_ci_u32_e64 v44, null, v82, v44, vcc_lo
	v_add_co_u32 v57, vcc_lo, v81, v57
	v_lshlrev_b64 v[63:64], 1, v[71:72]
	v_add_co_ci_u32_e64 v58, null, v82, v58, vcc_lo
	v_add_co_u32 v45, vcc_lo, v81, v45
	s_delay_alu instid0(VALU_DEP_1) | instskip(SKIP_1) | instid1(VALU_DEP_1)
	v_add_co_ci_u32_e64 v46, null, v82, v46, vcc_lo
	v_add_co_u32 v59, vcc_lo, v81, v59
	v_add_co_ci_u32_e64 v60, null, v82, v60, vcc_lo
	v_add_co_u32 v61, vcc_lo, v81, v61
	s_delay_alu instid0(VALU_DEP_1) | instskip(SKIP_1) | instid1(VALU_DEP_1)
	v_add_co_ci_u32_e64 v62, null, v82, v62, vcc_lo
	v_add_co_u32 v63, vcc_lo, v81, v63
	v_add_co_ci_u32_e64 v64, null, v82, v64, vcc_lo
	v_dual_mov_b32 v118, v74 :: v_dual_mov_b32 v117, v73
	v_dual_mov_b32 v116, v76 :: v_dual_mov_b32 v115, v75
	;; [unrolled: 1-line block ×6, first 2 shown]
	.loc	1 32 25 is_stmt 1               ; indirect_matmul.py:32:25
	v_add_co_u32 v65, vcc_lo, 0x80, v65
	s_delay_alu instid0(VALU_DEP_1)
	v_add_co_ci_u32_e64 v66, null, 0, v66, vcc_lo
	.loc	1 35 20                         ; indirect_matmul.py:35:20
	s_waitcnt vmcnt(0) lgkmcnt(0)
	s_barrier
	buffer_gl0_inv
	.loc	1 36 20                         ; indirect_matmul.py:36:20
	s_clause 0xf
	global_load_u16 v72, v[33:34], off
	global_load_u16 v71, v[47:48], off
	;; [unrolled: 1-line block ×16, first 2 shown]
	.loc	1 35 20                         ; indirect_matmul.py:35:20
	ds_load_u16 v35, v93 offset:512
	ds_load_u16 v36, v93 offset:768
	;; [unrolled: 1-line block ×28, first 2 shown]
	ds_load_u16 v33, v93
	s_waitcnt lgkmcnt(22)
	ds_load_u16_d16_hi v37, v93 offset:1152
	s_waitcnt lgkmcnt(22)
	ds_load_u16_d16_hi v38, v93 offset:1408
	;; [unrolled: 2-line block ×3, first 2 shown]
	ds_load_u16 v34, v93 offset:256
	ds_load_u16 v41, v93 offset:64
	s_waitcnt lgkmcnt(20)
	ds_load_u16_d16_hi v64, v93 offset:4032
	ds_load_u16 v54, v93 offset:3328
	ds_load_u16_d16_hi v35, v93 offset:640
	ds_load_u16_d16_hi v36, v93 offset:896
	;; [unrolled: 1-line block ×8, first 2 shown]
	s_waitcnt lgkmcnt(23)
	ds_load_u16_d16_hi v49, v93 offset:2176
	s_waitcnt lgkmcnt(20)
	ds_load_u16_d16_hi v48, v93 offset:1984
	ds_load_u16_d16_hi v47, v93 offset:1728
	;; [unrolled: 1-line block ×10, first 2 shown]
	s_waitcnt lgkmcnt(26)
	ds_load_u16_d16_hi v33, v93 offset:128
	s_waitcnt lgkmcnt(23)
	ds_load_u16_d16_hi v34, v93 offset:384
	;; [unrolled: 2-line block ×3, first 2 shown]
	ds_load_u16_d16_hi v43, v93 offset:704
	ds_load_u16_d16_hi v42, v93 offset:448
	s_waitcnt lgkmcnt(24)
	ds_load_u16_d16_hi v54, v93 offset:3456
	ds_load_u16_d16_hi v61, v93 offset:3264
	;; [unrolled: 1-line block ×4, first 2 shown]
	.loc	1 38 21                         ; indirect_matmul.py:38:21
	ds_store_b16 v85, v120 offset:4096
	ds_store_b16 v85, v119 offset:4352
	;; [unrolled: 1-line block ×16, first 2 shown]
	s_waitcnt vmcnt(0) lgkmcnt(0)
	s_barrier
	buffer_gl0_inv
	ds_load_u16 v112, v94 offset:4352
	ds_load_u16 v113, v94 offset:4608
	;; [unrolled: 1-line block ×24, first 2 shown]
	s_waitcnt lgkmcnt(19)
	ds_load_u16_d16_hi v116, v94 offset:5504
	s_waitcnt lgkmcnt(19)
	ds_load_u16_d16_hi v123, v94 offset:5312
	ds_load_u16 v119, v94 offset:4160
	ds_load_u16_d16_hi v112, v94 offset:4480
	ds_load_u16 v121, v94 offset:4672
	ds_load_u16 v120, v94 offset:4416
	;; [unrolled: 1-line block ×3, first 2 shown]
	s_waitcnt lgkmcnt(22)
	ds_load_u16_d16_hi v129, v94 offset:6848
	ds_load_u16_d16_hi v117, v94 offset:5760
	ds_load_u16 v125, v94 offset:5696
	s_waitcnt lgkmcnt(21)
	ds_load_u16_d16_hi v118, v94 offset:6016
	ds_load_u16 v127, v94 offset:6208
	ds_load_u16 v126, v94 offset:5952
	s_waitcnt lgkmcnt(20)
	ds_load_u16_d16_hi v134, v94 offset:8128
	ds_load_u16 v140, v94 offset:7424
	ds_load_u16_d16_hi v115, v94 offset:5248
	ds_load_u16_d16_hi v113, v94 offset:4736
	;; [unrolled: 1-line block ×7, first 2 shown]
	s_waitcnt lgkmcnt(25)
	ds_load_u16_d16_hi v141, v94 offset:7808
	s_waitcnt lgkmcnt(25)
	ds_load_u16_d16_hi v142, v94 offset:8064
	ds_load_u16_d16_hi v139, v94 offset:7296
	;; [unrolled: 1-line block ×3, first 2 shown]
	s_waitcnt lgkmcnt(26)
	ds_load_u16_d16_hi v111, v94 offset:4224
	s_waitcnt lgkmcnt(24)
	ds_load_u16_d16_hi v119, v94 offset:4288
	;; [unrolled: 2-line block ×7, first 2 shown]
	ds_load_u16_d16_hi v127, v94 offset:6336
	ds_load_u16_d16_hi v136, v94 offset:6528
	ds_load_u16_d16_hi v135, v94 offset:6272
	s_waitcnt lgkmcnt(21)
	ds_load_u16_d16_hi v140, v94 offset:7552
	ds_load_u16_d16_hi v131, v94 offset:7360
	;; [unrolled: 1-line block ×4, first 2 shown]
	.loc	1 35 20                         ; indirect_matmul.py:35:20
	ds_store_b16 v85, v98
	ds_store_b16 v85, v99 offset:256
	ds_store_b16 v85, v100 offset:512
	;; [unrolled: 1-line block ×12, first 2 shown]
	ds_store_b16 v86, v95
	ds_store_b16 v85, v109 offset:3584
	ds_store_b16 v89, v110
	.loc	1 38 26                         ; indirect_matmul.py:38:26
	s_waitcnt lgkmcnt(29)
	v_wmma_f32_16x16x16_bf16 v[9:16], v[33:40], v[111:118], v[9:16]
	v_wmma_f32_16x16x16_bf16 v[25:32], v[41:48], v[111:118], v[25:32]
	s_waitcnt lgkmcnt(23)
	v_wmma_f32_16x16x16_bf16 v[17:24], v[33:40], v[119:126], v[17:24]
	v_wmma_f32_16x16x16_bf16 v[1:8], v[41:48], v[119:126], v[1:8]
	;; [unrolled: 3-line block ×4, first 2 shown]
	.loc	1 32 25                         ; indirect_matmul.py:32:25
	s_cbranch_scc1 .LBB0_66
	s_branch .LBB0_68
.LBB0_67:
	.loc	1 0 25 is_stmt 0                ; indirect_matmul.py:0:25
	v_mov_b32_e32 v8, 0
	s_delay_alu instid0(VALU_DEP_1)
	v_mov_b32_e32 v7, v8
	v_mov_b32_e32 v6, v8
	v_mov_b32_e32 v5, v8
	v_mov_b32_e32 v4, v8
	v_mov_b32_e32 v3, v8
	v_mov_b32_e32 v2, v8
	v_mov_b32_e32 v1, v8
	v_mov_b32_e32 v24, v8
	v_mov_b32_e32 v23, v8
	v_mov_b32_e32 v22, v8
	v_mov_b32_e32 v21, v8
	v_mov_b32_e32 v20, v8
	v_mov_b32_e32 v19, v8
	v_mov_b32_e32 v18, v8
	v_mov_b32_e32 v17, v8
	v_mov_b32_e32 v32, v8
	v_mov_b32_e32 v31, v8
	v_mov_b32_e32 v30, v8
	v_mov_b32_e32 v29, v8
	v_mov_b32_e32 v28, v8
	v_mov_b32_e32 v27, v8
	v_mov_b32_e32 v26, v8
	v_mov_b32_e32 v25, v8
	v_mov_b32_e32 v16, v8
	v_mov_b32_e32 v15, v8
	v_mov_b32_e32 v14, v8
	v_mov_b32_e32 v13, v8
	v_mov_b32_e32 v12, v8
	v_mov_b32_e32 v11, v8
	v_mov_b32_e32 v10, v8
	v_mov_b32_e32 v9, v8
.LBB0_68:                               ; %Flow283
	.loc	1 35 20 is_stmt 1               ; indirect_matmul.py:35:20
	v_and_b32_e32 v33, 15, v0
	s_waitcnt lgkmcnt(0)
	s_barrier
	buffer_gl0_inv
	s_load_b32 s0, s[0:1], 0x8
	v_lshlrev_b32_e32 v120, 1, v33
	.loc	1 32 25                         ; indirect_matmul.py:32:25
	s_add_i32 s12, s12, 31
	s_delay_alu instid0(SALU_CYCLE_1) | instskip(NEXT) | instid1(VALU_DEP_1)
	s_cmp_lt_i32 s12, 32
	.loc	1 35 20                         ; indirect_matmul.py:35:20
	v_add3_u32 v99, 0, v68, v120
	ds_load_u16 v49, v99
	ds_load_u16 v51, v99 offset:128
	ds_load_u16 v52, v99 offset:256
	;; [unrolled: 1-line block ×63, first 2 shown]
	.loc	1 38 21                         ; indirect_matmul.py:38:21
	ds_store_b16 v85, v72 offset:4096
	ds_store_b16 v85, v71 offset:4352
	;; [unrolled: 1-line block ×16, first 2 shown]
	s_waitcnt lgkmcnt(0)
	s_barrier
	buffer_gl0_inv
	s_cbranch_scc1 .LBB0_70
; %bb.69:
	v_add3_u32 v79, 0, v87, v120
	.loc	1 38 26 is_stmt 0               ; indirect_matmul.py:38:26
	v_perm_b32 v143, v113, v112, 0x5040100
	v_perm_b32 v142, v109, v108, 0x5040100
	;; [unrolled: 1-line block ×4, first 2 shown]
	.loc	1 38 21                         ; indirect_matmul.py:38:21
	ds_load_u16 v73, v79 offset:6720
	ds_load_u16 v86, v79 offset:6912
	;; [unrolled: 1-line block ×22, first 2 shown]
	.loc	1 38 26                         ; indirect_matmul.py:38:26
	v_perm_b32 v139, v103, v102, 0x5040100
	v_perm_b32 v138, v101, v100, 0x5040100
	v_perm_b32 v137, v53, v52, 0x5040100
	v_perm_b32 v136, v51, v49, 0x5040100
	v_perm_b32 v53, v62, v64, 0x5040100
	v_perm_b32 v52, v63, v65, 0x5040100
	v_perm_b32 v51, v46, v48, 0x5040100
	v_perm_b32 v50, v47, v50, 0x5040100
	v_perm_b32 v49, v38, v40, 0x5040100
	v_perm_b32 v48, v39, v41, 0x5040100
	v_perm_b32 v47, v34, v36, 0x5040100
	v_perm_b32 v46, v35, v37, 0x5040100
	v_perm_b32 v107, v119, v118, 0x5040100
	v_perm_b32 v106, v117, v116, 0x5040100
	v_perm_b32 v105, v115, v114, 0x5040100
	v_perm_b32 v104, v111, v110, 0x5040100
	v_perm_b32 v103, v82, v70, 0x5040100
	v_perm_b32 v102, v69, v66, 0x5040100
	v_perm_b32 v101, v58, v56, 0x5040100
	.loc	1 38 21                         ; indirect_matmul.py:38:21
	s_waitcnt lgkmcnt(20)
	ds_load_u16_d16_hi v86, v79 offset:7040
	ds_load_u16_d16_hi v73, v79 offset:6848
	s_waitcnt lgkmcnt(21)
	ds_load_u16_d16_hi v123, v79 offset:5056
	s_waitcnt lgkmcnt(21)
	;; [unrolled: 2-line block ×3, first 2 shown]
	ds_load_u16_d16_hi v132, v79 offset:5248
	ds_load_u16 v131, v79 offset:4864
	ds_load_u16 v130, v79 offset:4608
	;; [unrolled: 1-line block ×3, first 2 shown]
	s_waitcnt lgkmcnt(24)
	ds_load_u16_d16_hi v78, v79 offset:8128
	ds_load_u16 v90, v79 offset:7936
	ds_load_u16 v89, v79 offset:7680
	;; [unrolled: 1-line block ×4, first 2 shown]
	s_waitcnt lgkmcnt(20)
	ds_load_u16_d16_hi v87, v79 offset:7296
	ds_load_u16_d16_hi v74, v79 offset:7104
	ds_load_u16 v85, v79 offset:6656
	ds_load_u16 v84, v79 offset:6400
	ds_load_u16_d16_hi v134, v79 offset:5760
	ds_load_u16_d16_hi v125, v79 offset:5568
	s_waitcnt lgkmcnt(19)
	ds_load_u16_d16_hi v129, v79 offset:4480
	ds_load_u16_d16_hi v120, v79 offset:4288
	ds_load_u16 v71, v79 offset:6208
	ds_load_u16_d16_hi v83, v79 offset:6272
	ds_load_u16_d16_hi v127, v79 offset:6080
	;; [unrolled: 1-line block ×6, first 2 shown]
	.loc	1 38 26                         ; indirect_matmul.py:38:26
	v_perm_b32 v100, v55, v54, 0x5040100
	v_perm_b32 v41, v96, v98, 0x5040100
	;; [unrolled: 1-line block ×4, first 2 shown]
	.loc	1 38 21                         ; indirect_matmul.py:38:21
	s_waitcnt lgkmcnt(22)
	ds_load_u16_d16_hi v131, v79 offset:4992
	s_waitcnt lgkmcnt(22)
	ds_load_u16_d16_hi v130, v79 offset:4736
	s_waitcnt lgkmcnt(22)
	ds_load_u16_d16_hi v128, v79 offset:4224
	s_waitcnt lgkmcnt(19)
	ds_load_u16_d16_hi v88, v79 offset:7552
	s_waitcnt lgkmcnt(19)
	ds_load_u16_d16_hi v75, v79 offset:7360
	ds_load_u16_d16_hi v124, v79 offset:5312
	ds_load_u16_d16_hi v77, v79 offset:7872
	;; [unrolled: 1-line block ×5, first 2 shown]
	.loc	1 38 26                         ; indirect_matmul.py:38:26
	v_perm_b32 v38, v93, v95, 0x5040100
	v_perm_b32 v37, v57, v60, 0x5040100
	;; [unrolled: 1-line block ×5, first 2 shown]
	.loc	1 38 21                         ; indirect_matmul.py:38:21
	ds_load_u16_d16_hi v72, v79 offset:6592
	s_waitcnt lgkmcnt(17)
	ds_load_u16_d16_hi v71, v79 offset:6336
	ds_load_u16_d16_hi v85, v79 offset:6784
	;; [unrolled: 1-line block ×3, first 2 shown]
	.loc	1 38 26                         ; indirect_matmul.py:38:26
	s_waitcnt lgkmcnt(11)
	v_wmma_f32_16x16x16_bf16 v[9:16], v[136:143], v[128:135], v[9:16]
	v_wmma_f32_16x16x16_bf16 v[25:32], v[46:53], v[128:135], v[25:32]
	s_waitcnt lgkmcnt(8)
	v_wmma_f32_16x16x16_bf16 v[17:24], v[136:143], v[120:127], v[17:24]
	v_wmma_f32_16x16x16_bf16 v[1:8], v[46:53], v[120:127], v[1:8]
	s_waitcnt lgkmcnt(2)
	s_delay_alu instid0(VALU_DEP_2) | instskip(NEXT) | instid1(VALU_DEP_2)
	v_wmma_f32_16x16x16_bf16 v[17:24], v[100:107], v[71:78], v[17:24]
	v_wmma_f32_16x16x16_bf16 v[1:8], v[34:41], v[71:78], v[1:8]
	s_waitcnt lgkmcnt(0)
	v_wmma_f32_16x16x16_bf16 v[9:16], v[100:107], v[83:90], v[9:16]
	v_wmma_f32_16x16x16_bf16 v[25:32], v[34:41], v[83:90], v[25:32]
.LBB0_70:                               ; %._crit_edge._crit_edge
	.loc	1 26 35 is_stmt 1               ; indirect_matmul.py:26:35
	v_lshrrev_b32_e32 v0, 4, v0
	v_lshrrev_b32_e32 v34, 1, v68
	s_delay_alu instid0(VALU_DEP_1) | instskip(SKIP_1) | instid1(VALU_DEP_2)
	v_and_or_b32 v0, v0, 1, v34
	.loc	1 42 28                         ; indirect_matmul.py:42:28
	v_lshrrev_b32_e32 v34, 2, v67
	.loc	1 26 35                         ; indirect_matmul.py:26:35
	v_or_b32_e32 v35, 2, v0
	s_delay_alu instid0(VALU_DEP_2)
	.loc	1 42 28                         ; indirect_matmul.py:42:28
	v_or_b32_e32 v33, v34, v33
	.loc	1 26 35                         ; indirect_matmul.py:26:35
	v_or_b32_e32 v37, 4, v0
	v_or_b32_e32 v39, 6, v0
	;; [unrolled: 1-line block ×3, first 2 shown]
	.loc	1 42 48                         ; indirect_matmul.py:42:48
	v_mul_lo_u32 v35, v35, s0
	.loc	1 42 21 is_stmt 0               ; indirect_matmul.py:42:21
	v_lshlrev_b32_e32 v33, 2, v33
	.loc	1 26 35 is_stmt 1               ; indirect_matmul.py:26:35
	v_or_b32_e32 v41, 8, v0
	.loc	1 42 48                         ; indirect_matmul.py:42:48
	v_mul_lo_u32 v37, v37, s0
	.loc	1 26 35                         ; indirect_matmul.py:26:35
	v_or_b32_e32 v36, 40, v0
	v_or_b32_e32 v43, 10, v0
	.loc	1 42 21                         ; indirect_matmul.py:42:21
	v_add_co_u32 v65, s1, s2, v33
	.loc	1 42 48 is_stmt 0               ; indirect_matmul.py:42:48
	v_mul_lo_u32 v33, v0, s0
	v_mul_lo_u32 v39, v39, s0
	.loc	1 26 35 is_stmt 1               ; indirect_matmul.py:26:35
	v_or_b32_e32 v38, 46, v0
	v_or_b32_e32 v45, 12, v0
	.loc	1 42 48                         ; indirect_matmul.py:42:48
	v_mul_lo_u32 v41, v41, s0
	v_mul_lo_u32 v47, v34, s0
	.loc	1 26 35                         ; indirect_matmul.py:26:35
	v_or_b32_e32 v40, 44, v0
	.loc	1 42 48                         ; indirect_matmul.py:42:48
	v_mul_lo_u32 v43, v43, s0
	.loc	1 42 39 is_stmt 0               ; indirect_matmul.py:42:39
	v_ashrrev_i32_e32 v34, 31, v33
	.loc	1 42 48                         ; indirect_matmul.py:42:48
	v_mul_lo_u32 v57, v36, s0
	.loc	1 42 39                         ; indirect_matmul.py:42:39
	v_ashrrev_i32_e32 v36, 31, v35
	.loc	1 26 35 is_stmt 1               ; indirect_matmul.py:26:35
	v_or_b32_e32 v42, 42, v0
	v_or_b32_e32 v49, 32, v0
	.loc	1 42 48                         ; indirect_matmul.py:42:48
	v_mul_lo_u32 v45, v45, s0
	v_mul_lo_u32 v63, v38, s0
	.loc	1 42 39 is_stmt 0               ; indirect_matmul.py:42:39
	v_ashrrev_i32_e32 v38, 31, v37
	.loc	1 26 35 is_stmt 1               ; indirect_matmul.py:26:35
	v_or_b32_e32 v44, 38, v0
	v_or_b32_e32 v48, 34, v0
	.loc	1 42 39                         ; indirect_matmul.py:42:39
	v_lshlrev_b64 v[33:34], 2, v[33:34]
	.loc	1 42 48 is_stmt 0               ; indirect_matmul.py:42:48
	v_mul_lo_u32 v61, v40, s0
	.loc	1 42 39                         ; indirect_matmul.py:42:39
	v_ashrrev_i32_e32 v40, 31, v39
	.loc	1 26 35 is_stmt 1               ; indirect_matmul.py:26:35
	v_or_b32_e32 v46, 36, v0
	.loc	1 42 39                         ; indirect_matmul.py:42:39
	v_lshlrev_b64 v[35:36], 2, v[35:36]
	.loc	1 42 21 is_stmt 0               ; indirect_matmul.py:42:21
	v_add_co_ci_u32_e64 v66, null, s3, 0, s1
	.loc	1 42 48                         ; indirect_matmul.py:42:48
	v_mul_lo_u32 v49, v49, s0
	v_mul_lo_u32 v59, v42, s0
	.loc	1 42 39                         ; indirect_matmul.py:42:39
	v_ashrrev_i32_e32 v42, 31, v41
	v_lshlrev_b64 v[37:38], 2, v[37:38]
	.loc	1 42 48                         ; indirect_matmul.py:42:48
	v_mul_lo_u32 v51, v48, s0
	v_mul_lo_u32 v55, v44, s0
	.loc	1 42 39                         ; indirect_matmul.py:42:39
	v_ashrrev_i32_e32 v44, 31, v43
	v_add_co_u32 v33, vcc_lo, v65, v33
	v_lshlrev_b64 v[39:40], 2, v[39:40]
	.loc	1 42 48                         ; indirect_matmul.py:42:48
	v_mul_lo_u32 v53, v46, s0
	.loc	1 42 39                         ; indirect_matmul.py:42:39
	v_ashrrev_i32_e32 v46, 31, v45
	v_add_co_ci_u32_e64 v34, null, v66, v34, vcc_lo
	v_add_co_u32 v35, vcc_lo, v65, v35
	v_lshlrev_b64 v[41:42], 2, v[41:42]
	v_ashrrev_i32_e32 v48, 31, v47
	v_add_co_ci_u32_e64 v36, null, v66, v36, vcc_lo
	v_add_co_u32 v37, vcc_lo, v65, v37
	v_lshlrev_b64 v[43:44], 2, v[43:44]
	;; [unrolled: 4-line block ×10, first 2 shown]
	v_add_co_ci_u32_e64 v54, null, v66, v54, vcc_lo
	v_add_co_u32 v55, vcc_lo, v65, v55
	v_lshlrev_b64 v[61:62], 2, v[61:62]
	v_add_co_ci_u32_e64 v56, null, v66, v56, vcc_lo
	v_add_co_u32 v57, vcc_lo, v65, v57
	v_lshlrev_b64 v[63:64], 2, v[63:64]
	v_add_co_ci_u32_e64 v58, null, v66, v58, vcc_lo
	v_add_co_u32 v59, vcc_lo, v65, v59
	s_delay_alu instid0(VALU_DEP_1) | instskip(SKIP_1) | instid1(VALU_DEP_1)
	v_add_co_ci_u32_e64 v60, null, v66, v60, vcc_lo
	v_add_co_u32 v61, vcc_lo, v65, v61
	v_add_co_ci_u32_e64 v62, null, v66, v62, vcc_lo
	v_add_co_u32 v63, vcc_lo, v65, v63
	s_delay_alu instid0(VALU_DEP_1)
	v_add_co_ci_u32_e64 v64, null, v66, v64, vcc_lo
	.loc	1 43 23 is_stmt 1               ; indirect_matmul.py:43:23
	s_clause 0x1f
	global_store_b32 v[33:34], v9, off
	global_store_b32 v[35:36], v10, off
	;; [unrolled: 1-line block ×16, first 2 shown]
	global_store_b32 v[33:34], v17, off offset:128
	global_store_b32 v[35:36], v18, off offset:128
	;; [unrolled: 1-line block ×16, first 2 shown]
	.loc	1 43 4 is_stmt 0                ; indirect_matmul.py:43:4
	s_nop 0
	s_sendmsg sendmsg(MSG_DEALLOC_VGPRS)
	s_endpgm
.Ltmp1:
	.section	.rodata,"a",@progbits
	.p2align	6, 0x0
	.amdhsa_kernel indirect_matmul_kernel
		.amdhsa_group_segment_fixed_size 0
		.amdhsa_private_segment_fixed_size 0
		.amdhsa_kernarg_size 80
		.amdhsa_user_sgpr_count 15
		.amdhsa_user_sgpr_dispatch_ptr 0
		.amdhsa_user_sgpr_queue_ptr 0
		.amdhsa_user_sgpr_kernarg_segment_ptr 1
		.amdhsa_user_sgpr_dispatch_id 0
		.amdhsa_user_sgpr_private_segment_size 0
		.amdhsa_wavefront_size32 1
		.amdhsa_uses_dynamic_stack 0
		.amdhsa_enable_private_segment 0
		.amdhsa_system_sgpr_workgroup_id_x 1
		.amdhsa_system_sgpr_workgroup_id_y 0
		.amdhsa_system_sgpr_workgroup_id_z 0
		.amdhsa_system_sgpr_workgroup_info 0
		.amdhsa_system_vgpr_workitem_id 0
		.amdhsa_next_free_vgpr 144
		.amdhsa_next_free_sgpr 14
		.amdhsa_reserve_vcc 1
		.amdhsa_float_round_mode_32 0
		.amdhsa_float_round_mode_16_64 0
		.amdhsa_float_denorm_mode_32 3
		.amdhsa_float_denorm_mode_16_64 3
		.amdhsa_dx10_clamp 1
		.amdhsa_ieee_mode 1
		.amdhsa_fp16_overflow 0
		.amdhsa_workgroup_processor_mode 1
		.amdhsa_memory_ordered 1
		.amdhsa_forward_progress 1
		.amdhsa_shared_vgpr_count 0
		.amdhsa_inst_pref_size 63
		.amdhsa_exception_fp_ieee_invalid_op 0
		.amdhsa_exception_fp_denorm_src 0
		.amdhsa_exception_fp_ieee_div_zero 0
		.amdhsa_exception_fp_ieee_overflow 0
		.amdhsa_exception_fp_ieee_underflow 0
		.amdhsa_exception_fp_ieee_inexact 0
		.amdhsa_exception_int_div_zero 0
	.end_amdhsa_kernel
	.text
.Lfunc_end0:
	.size	indirect_matmul_kernel, .Lfunc_end0-indirect_matmul_kernel
	.cfi_endproc
                                        ; -- End function
	.set indirect_matmul_kernel.num_vgpr, 144
	.set indirect_matmul_kernel.num_agpr, 0
	.set indirect_matmul_kernel.numbered_sgpr, 14
	.set indirect_matmul_kernel.num_named_barrier, 0
	.set indirect_matmul_kernel.private_seg_size, 0
	.set indirect_matmul_kernel.uses_vcc, 1
	.set indirect_matmul_kernel.uses_flat_scratch, 0
	.set indirect_matmul_kernel.has_dyn_sized_stack, 0
	.set indirect_matmul_kernel.has_recursion, 0
	.set indirect_matmul_kernel.has_indirect_call, 0
	.section	.AMDGPU.csdata,"",@progbits
; Kernel info:
; codeLenInByte = 9292
; TotalNumSgprs: 16
; NumVgprs: 144
; ScratchSize: 0
; MemoryBound: 0
; FloatMode: 240
; IeeeMode: 1
; LDSByteSize: 0 bytes/workgroup (compile time only)
; SGPRBlocks: 0
; VGPRBlocks: 17
; NumSGPRsForWavesPerEU: 16
; NumVGPRsForWavesPerEU: 144
; Occupancy: 10
; WaveLimiterHint : 1
; COMPUTE_PGM_RSRC2:SCRATCH_EN: 0
; COMPUTE_PGM_RSRC2:USER_SGPR: 15
; COMPUTE_PGM_RSRC2:TRAP_HANDLER: 0
; COMPUTE_PGM_RSRC2:TGID_X_EN: 1
; COMPUTE_PGM_RSRC2:TGID_Y_EN: 0
; COMPUTE_PGM_RSRC2:TGID_Z_EN: 0
; COMPUTE_PGM_RSRC2:TIDIG_COMP_CNT: 0
	.text
	.p2alignl 7, 3214868480
	.fill 96, 4, 3214868480
	.section	.AMDGPU.gpr_maximums,"",@progbits
	.set amdgpu.max_num_vgpr, 0
	.set amdgpu.max_num_agpr, 0
	.set amdgpu.max_num_sgpr, 0
	.set amdgpu.max_num_named_barrier, 0
	.text
	.section	.debug_abbrev,"",@progbits
	.byte	1                               ; Abbreviation Code
	.byte	17                              ; DW_TAG_compile_unit
	.byte	0                               ; DW_CHILDREN_no
	.byte	37                              ; DW_AT_producer
	.byte	14                              ; DW_FORM_strp
	.byte	19                              ; DW_AT_language
	.byte	5                               ; DW_FORM_data2
	.byte	3                               ; DW_AT_name
	.byte	14                              ; DW_FORM_strp
	.byte	16                              ; DW_AT_stmt_list
	.byte	23                              ; DW_FORM_sec_offset
	.byte	27                              ; DW_AT_comp_dir
	.byte	14                              ; DW_FORM_strp
	.byte	17                              ; DW_AT_low_pc
	.byte	1                               ; DW_FORM_addr
	.byte	18                              ; DW_AT_high_pc
	.byte	6                               ; DW_FORM_data4
	.byte	0                               ; EOM(1)
	.byte	0                               ; EOM(2)
	;; [unrolled: 1-line block ×3, first 2 shown]
	.section	.debug_info,"",@progbits
.Lcu_begin0:
	.long	.Ldebug_info_end0-.Ldebug_info_start0 ; Length of Unit
.Ldebug_info_start0:
	.short	4                               ; DWARF version number
	.long	.debug_abbrev                   ; Offset Into Abbrev. Section
	.byte	8                               ; Address Size (in bytes)
	.byte	1                               ; Abbrev [1] 0xb:0x1f DW_TAG_compile_unit
	.long	.Linfo_string0                  ; DW_AT_producer
	.short	2                               ; DW_AT_language
	.long	.Linfo_string1                  ; DW_AT_name
	.long	.Lline_table_start0             ; DW_AT_stmt_list
	.long	.Linfo_string2                  ; DW_AT_comp_dir
	.quad	.Lfunc_begin0                   ; DW_AT_low_pc
	.long	.Lfunc_end0-.Lfunc_begin0       ; DW_AT_high_pc
.Ldebug_info_end0:
	.section	.debug_str,"MS",@progbits,1
.Linfo_string0:
	.asciz	"triton"                        ; string offset=0
.Linfo_string1:
	.asciz	"indirect_matmul.py"            ; string offset=7
.Linfo_string2:
	.asciz	"/root/src/amdgpu-assembly/repos/triton-lang__triton-aot" ; string offset=26
	.section	".note.GNU-stack","",@progbits
	.amdgpu_metadata
---
amdhsa.kernels:
  - .args:
      - .address_space:  global
        .offset:         0
        .size:           8
        .value_kind:     global_buffer
      - .offset:         8
        .size:           4
        .value_kind:     by_value
      - .address_space:  global
        .offset:         16
        .size:           8
        .value_kind:     global_buffer
      - .offset:         24
        .size:           4
        .value_kind:     by_value
      - .address_space:  global
        .offset:         32
        .size:           8
        .value_kind:     global_buffer
      - .offset:         40
        .size:           4
        .value_kind:     by_value
      - .address_space:  global
        .offset:         48
        .size:           8
        .value_kind:     global_buffer
      - .offset:         56
        .size:           4
        .value_kind:     by_value
      - .address_space:  global
        .offset:         64
        .size:           8
        .value_kind:     global_buffer
      - .address_space:  global
        .offset:         72
        .size:           8
        .value_kind:     global_buffer
    .group_segment_fixed_size: 0
    .kernarg_segment_align: 8
    .kernarg_segment_size: 80
    .max_flat_workgroup_size: 128
    .name:           indirect_matmul_kernel
    .private_segment_fixed_size: 0
    .sgpr_count:     16
    .sgpr_spill_count: 0
    .symbol:         indirect_matmul_kernel.kd
    .uniform_work_group_size: 1
    .uses_dynamic_stack: false
    .vgpr_count:     144
    .vgpr_spill_count: 0
    .wavefront_size: 32
    .workgroup_processor_mode: 1
amdhsa.target:   amdgcn-amd-amdhsa--gfx1100
amdhsa.version:
  - 1
  - 2
...

	.end_amdgpu_metadata
	.section	.debug_line,"",@progbits
.Lline_table_start0:
